;; amdgpu-corpus repo=ROCm/rocFFT kind=compiled arch=gfx1201 opt=O3
	.text
	.amdgcn_target "amdgcn-amd-amdhsa--gfx1201"
	.amdhsa_code_object_version 6
	.protected	bluestein_single_fwd_len1120_dim1_sp_op_CI_CI ; -- Begin function bluestein_single_fwd_len1120_dim1_sp_op_CI_CI
	.globl	bluestein_single_fwd_len1120_dim1_sp_op_CI_CI
	.p2align	8
	.type	bluestein_single_fwd_len1120_dim1_sp_op_CI_CI,@function
bluestein_single_fwd_len1120_dim1_sp_op_CI_CI: ; @bluestein_single_fwd_len1120_dim1_sp_op_CI_CI
; %bb.0:
	s_load_b128 s[8:11], s[0:1], 0x28
	v_mul_u32_u24_e32 v1, 0x125, v0
	s_mov_b32 s2, exec_lo
	v_mov_b32_e32 v33, 0
	s_delay_alu instid0(VALU_DEP_2) | instskip(NEXT) | instid1(VALU_DEP_1)
	v_lshrrev_b32_e32 v1, 16, v1
	v_add_nc_u32_e32 v32, ttmp9, v1
	s_wait_kmcnt 0x0
	s_delay_alu instid0(VALU_DEP_1)
	v_cmpx_gt_u64_e64 s[8:9], v[32:33]
	s_cbranch_execz .LBB0_55
; %bb.1:
	s_clause 0x1
	s_load_b128 s[4:7], s[0:1], 0x18
	s_load_b64 s[16:17], s[0:1], 0x0
	v_mul_lo_u16 v1, 0xe0, v1
	s_movk_i32 s2, 0xfeb0
	s_mov_b32 s3, -1
	s_delay_alu instid0(VALU_DEP_1) | instskip(NEXT) | instid1(VALU_DEP_1)
	v_sub_nc_u16 v14, v0, v1
	v_and_b32_e32 v56, 0xffff, v14
	s_wait_kmcnt 0x0
	s_load_b128 s[12:15], s[4:5], 0x0
	s_wait_kmcnt 0x0
	v_mad_co_u64_u32 v[0:1], null, s14, v32, 0
	v_mad_co_u64_u32 v[2:3], null, s12, v56, 0
	s_mul_u64 s[4:5], s[12:13], 0x230
	s_mul_u64 s[2:3], s[12:13], s[2:3]
	s_delay_alu instid0(SALU_CYCLE_1) | instskip(NEXT) | instid1(VALU_DEP_1)
	s_lshl_b64 s[2:3], s[2:3], 3
	v_mad_co_u64_u32 v[4:5], null, s15, v32, v[1:2]
	s_delay_alu instid0(VALU_DEP_1) | instskip(NEXT) | instid1(VALU_DEP_3)
	v_mov_b32_e32 v1, v4
	v_mad_co_u64_u32 v[5:6], null, s13, v56, v[3:4]
	v_lshlrev_b32_e32 v55, 3, v56
	s_delay_alu instid0(VALU_DEP_3)
	v_lshlrev_b64_e32 v[0:1], 3, v[0:1]
	s_clause 0x1
	global_load_b64 v[37:38], v55, s[16:17]
	global_load_b64 v[35:36], v55, s[16:17] offset:4480
	v_mov_b32_e32 v3, v5
	v_add_co_u32 v0, vcc_lo, s10, v0
	v_add_co_ci_u32_e32 v1, vcc_lo, s11, v1, vcc_lo
	s_delay_alu instid0(VALU_DEP_3) | instskip(SKIP_1) | instid1(VALU_DEP_1)
	v_lshlrev_b64_e32 v[2:3], 3, v[2:3]
	s_lshl_b64 s[10:11], s[4:5], 3
	v_add_co_u32 v0, vcc_lo, v0, v2
	s_wait_alu 0xfffd
	s_delay_alu instid0(VALU_DEP_2) | instskip(SKIP_1) | instid1(VALU_DEP_2)
	v_add_co_ci_u32_e32 v1, vcc_lo, v1, v3, vcc_lo
	s_wait_alu 0xfffe
	v_add_co_u32 v2, vcc_lo, v0, s10
	s_wait_alu 0xfffd
	s_delay_alu instid0(VALU_DEP_2)
	v_add_co_ci_u32_e32 v3, vcc_lo, s11, v1, vcc_lo
	s_clause 0x1
	global_load_b64 v[4:5], v[0:1], off
	global_load_b64 v[6:7], v[2:3], off
	v_add_co_u32 v2, vcc_lo, v2, s2
	s_wait_alu 0xfffd
	v_add_co_ci_u32_e32 v3, vcc_lo, s3, v3, vcc_lo
	s_delay_alu instid0(VALU_DEP_2) | instskip(SKIP_1) | instid1(VALU_DEP_2)
	v_add_co_u32 v0, vcc_lo, v2, s10
	s_wait_alu 0xfffd
	v_add_co_ci_u32_e32 v1, vcc_lo, s11, v3, vcc_lo
	v_cmp_gt_u16_e32 vcc_lo, 0x70, v14
	s_wait_loadcnt 0x1
	v_mul_f32_e32 v10, v5, v38
	s_wait_loadcnt 0x0
	v_mul_f32_e32 v12, v7, v36
	s_clause 0x1
	global_load_b64 v[39:40], v55, s[16:17] offset:6272
	global_load_b64 v[41:42], v55, s[16:17] offset:1792
	s_clause 0x1
	global_load_b64 v[2:3], v[2:3], off
	global_load_b64 v[8:9], v[0:1], off
	s_load_b64 s[8:9], s[0:1], 0x38
	s_load_b128 s[4:7], s[6:7], 0x0
	v_mul_f32_e32 v11, v4, v38
	v_fmac_f32_e32 v10, v4, v37
	v_fmac_f32_e32 v12, v6, v35
	v_add_co_u32 v33, s12, s16, v55
	s_delay_alu instid0(VALU_DEP_4) | instskip(SKIP_3) | instid1(VALU_DEP_2)
	v_fma_f32 v11, v5, v37, -v11
	v_mul_f32_e32 v5, v6, v36
	s_wait_alu 0xf1ff
	v_add_co_ci_u32_e64 v34, null, s17, 0, s12
	v_fma_f32 v13, v7, v35, -v5
	s_wait_loadcnt 0x1
	v_mul_f32_e32 v4, v3, v42
	s_wait_loadcnt 0x0
	v_dual_mul_f32 v15, v2, v42 :: v_dual_mul_f32 v6, v9, v40
	v_mul_f32_e32 v16, v8, v40
	s_delay_alu instid0(VALU_DEP_3) | instskip(NEXT) | instid1(VALU_DEP_3)
	v_fmac_f32_e32 v4, v2, v41
	v_fma_f32 v5, v3, v41, -v15
	s_delay_alu instid0(VALU_DEP_4) | instskip(NEXT) | instid1(VALU_DEP_4)
	v_fmac_f32_e32 v6, v8, v39
	v_fma_f32 v7, v9, v39, -v16
	ds_store_b64 v55, v[12:13] offset:4480
	ds_store_2addr_b64 v55, v[10:11], v[4:5] offset1:224
	ds_store_b64 v55, v[6:7] offset:6272
	s_and_saveexec_b32 s12, vcc_lo
	s_cbranch_execz .LBB0_3
; %bb.2:
	v_add_co_u32 v0, s2, v0, s2
	s_wait_alu 0xf1ff
	v_add_co_ci_u32_e64 v1, s2, s3, v1, s2
	s_delay_alu instid0(VALU_DEP_2) | instskip(SKIP_1) | instid1(VALU_DEP_2)
	v_add_co_u32 v2, s2, v0, s10
	s_wait_alu 0xf1ff
	v_add_co_ci_u32_e64 v3, s2, s11, v1, s2
	global_load_b64 v[0:1], v[0:1], off
	s_clause 0x1
	global_load_b64 v[4:5], v[33:34], off offset:3584
	global_load_b64 v[6:7], v[33:34], off offset:8064
	global_load_b64 v[2:3], v[2:3], off
	s_wait_loadcnt 0x2
	v_mul_f32_e32 v8, v1, v5
	v_mul_f32_e32 v9, v0, v5
	s_wait_loadcnt 0x0
	v_mul_f32_e32 v5, v3, v7
	s_delay_alu instid0(VALU_DEP_3) | instskip(NEXT) | instid1(VALU_DEP_3)
	v_dual_mul_f32 v7, v2, v7 :: v_dual_fmac_f32 v8, v0, v4
	v_fma_f32 v9, v1, v4, -v9
	s_delay_alu instid0(VALU_DEP_3) | instskip(NEXT) | instid1(VALU_DEP_3)
	v_fmac_f32_e32 v5, v2, v6
	v_fma_f32 v6, v3, v6, -v7
	ds_store_b64 v55, v[8:9] offset:3584
	ds_store_b64 v55, v[5:6] offset:8064
.LBB0_3:
	s_wait_alu 0xfffe
	s_or_b32 exec_lo, exec_lo, s12
	v_add_nc_u32_e32 v0, 0x1100, v55
	global_wb scope:SCOPE_SE
	s_wait_dscnt 0x0
	s_wait_kmcnt 0x0
	s_barrier_signal -1
	s_barrier_wait -1
	global_inv scope:SCOPE_SE
	ds_load_2addr_b64 v[3:6], v55 offset1:224
	ds_load_2addr_b64 v[7:10], v0 offset0:16 offset1:240
                                        ; implicit-def: $vgpr11
                                        ; implicit-def: $vgpr0
	s_and_saveexec_b32 s2, vcc_lo
	s_cbranch_execz .LBB0_5
; %bb.4:
	ds_load_b64 v[0:1], v55 offset:3584
	ds_load_b64 v[11:12], v55 offset:8064
.LBB0_5:
	s_wait_alu 0xfffe
	s_or_b32 exec_lo, exec_lo, s2
	s_load_b64 s[2:3], s[0:1], 0x8
	s_wait_dscnt 0x0
	v_dual_sub_f32 v17, v3, v7 :: v_dual_sub_f32 v18, v4, v8
	v_dual_sub_f32 v8, v6, v10 :: v_dual_lshlrev_b32 v13, 1, v56
	v_add_co_u32 v14, null, 0x1c0, v56
	s_delay_alu instid0(VALU_DEP_3) | instskip(SKIP_1) | instid1(VALU_DEP_4)
	v_fma_f32 v15, v3, 2.0, -v17
	v_dual_sub_f32 v7, v5, v9 :: v_dual_sub_f32 v2, v0, v11
	v_dual_sub_f32 v3, v1, v12 :: v_dual_add_nc_u32 v68, 0x1c0, v13
	v_fma_f32 v16, v4, 2.0, -v18
	v_lshlrev_b32_e32 v61, 4, v56
	s_delay_alu instid0(VALU_DEP_4) | instskip(NEXT) | instid1(VALU_DEP_4)
	v_fma_f32 v0, v0, 2.0, -v2
	v_fma_f32 v1, v1, 2.0, -v3
	v_lshlrev_b32_e32 v60, 4, v14
	v_fma_f32 v5, v5, 2.0, -v7
	v_fma_f32 v6, v6, 2.0, -v8
	v_lshlrev_b32_e32 v4, 3, v13
	global_wb scope:SCOPE_SE
	s_wait_kmcnt 0x0
	s_barrier_signal -1
	s_barrier_wait -1
	global_inv scope:SCOPE_SE
	ds_store_b128 v61, v[15:18]
	ds_store_b128 v4, v[5:8] offset:3584
	s_and_saveexec_b32 s0, vcc_lo
	s_cbranch_execz .LBB0_7
; %bb.6:
	ds_store_b128 v60, v[0:3]
.LBB0_7:
	s_wait_alu 0xfffe
	s_or_b32 exec_lo, exec_lo, s0
	v_add_nc_u32_e32 v8, 0x1100, v55
	global_wb scope:SCOPE_SE
	s_wait_dscnt 0x0
	s_barrier_signal -1
	s_barrier_wait -1
	global_inv scope:SCOPE_SE
	ds_load_2addr_b64 v[4:7], v55 offset1:224
	ds_load_2addr_b64 v[8:11], v8 offset0:16 offset1:240
	s_and_saveexec_b32 s0, vcc_lo
	s_cbranch_execz .LBB0_9
; %bb.8:
	ds_load_b64 v[0:1], v55 offset:3584
	ds_load_b64 v[2:3], v55 offset:8064
.LBB0_9:
	s_wait_alu 0xfffe
	s_or_b32 exec_lo, exec_lo, s0
	v_and_b32_e32 v58, 1, v56
	s_delay_alu instid0(VALU_DEP_1)
	v_lshlrev_b32_e32 v12, 3, v58
	global_load_b64 v[43:44], v12, s[2:3]
	v_lshlrev_b32_e32 v57, 1, v14
	global_wb scope:SCOPE_SE
	s_wait_loadcnt_dscnt 0x0
	s_barrier_signal -1
	s_barrier_wait -1
	global_inv scope:SCOPE_SE
	v_mul_f32_e32 v14, v8, v44
	v_mul_f32_e32 v17, v3, v44
	;; [unrolled: 1-line block ×4, first 2 shown]
	s_delay_alu instid0(VALU_DEP_4) | instskip(NEXT) | instid1(VALU_DEP_3)
	v_fmac_f32_e32 v14, v9, v43
	v_fmac_f32_e32 v18, v3, v43
	s_delay_alu instid0(VALU_DEP_2) | instskip(SKIP_2) | instid1(VALU_DEP_3)
	v_dual_fmac_f32 v16, v11, v43 :: v_dual_sub_f32 v3, v5, v14
	v_and_or_b32 v12, 0x1fc, v13, v58
	v_and_or_b32 v15, 0x3fc, v68, v58
	v_fma_f32 v5, v5, 2.0, -v3
	s_delay_alu instid0(VALU_DEP_3) | instskip(NEXT) | instid1(VALU_DEP_3)
	v_lshlrev_b32_e32 v64, 3, v12
	v_dual_mul_f32 v12, v9, v44 :: v_dual_lshlrev_b32 v63, 3, v15
	v_mul_f32_e32 v15, v11, v44
	v_sub_f32_e32 v11, v1, v18
	s_delay_alu instid0(VALU_DEP_3) | instskip(NEXT) | instid1(VALU_DEP_3)
	v_fma_f32 v8, v8, v43, -v12
	v_fma_f32 v9, v10, v43, -v15
	;; [unrolled: 1-line block ×3, first 2 shown]
	v_sub_f32_e32 v15, v7, v16
	s_delay_alu instid0(VALU_DEP_4) | instskip(NEXT) | instid1(VALU_DEP_4)
	v_sub_f32_e32 v2, v4, v8
	v_sub_f32_e32 v14, v6, v9
	s_delay_alu instid0(VALU_DEP_4)
	v_sub_f32_e32 v10, v0, v10
	v_fma_f32 v9, v1, 2.0, -v11
	v_fma_f32 v7, v7, 2.0, -v15
	;; [unrolled: 1-line block ×5, first 2 shown]
	ds_store_2addr_b64 v64, v[4:5], v[2:3] offset1:2
	ds_store_2addr_b64 v63, v[6:7], v[14:15] offset1:2
	s_and_saveexec_b32 s0, vcc_lo
	s_cbranch_execz .LBB0_11
; %bb.10:
	v_and_or_b32 v0, 0x7fc, v57, v58
	s_delay_alu instid0(VALU_DEP_1)
	v_lshlrev_b32_e32 v0, 3, v0
	ds_store_2addr_b64 v0, v[8:9], v[10:11] offset1:2
.LBB0_11:
	s_wait_alu 0xfffe
	s_or_b32 exec_lo, exec_lo, s0
	v_add_nc_u32_e32 v4, 0x1100, v55
	global_wb scope:SCOPE_SE
	s_wait_dscnt 0x0
	s_barrier_signal -1
	s_barrier_wait -1
	global_inv scope:SCOPE_SE
	ds_load_2addr_b64 v[0:3], v55 offset1:224
	ds_load_2addr_b64 v[4:7], v4 offset0:16 offset1:240
	s_and_saveexec_b32 s0, vcc_lo
	s_cbranch_execz .LBB0_13
; %bb.12:
	ds_load_b64 v[8:9], v55 offset:3584
	ds_load_b64 v[10:11], v55 offset:8064
.LBB0_13:
	s_wait_alu 0xfffe
	s_or_b32 exec_lo, exec_lo, s0
	v_and_b32_e32 v59, 3, v56
	s_delay_alu instid0(VALU_DEP_1)
	v_lshlrev_b32_e32 v12, 3, v59
	global_load_b64 v[45:46], v12, s[2:3] offset:16
	v_and_or_b32 v12, 0x1f8, v13, v59
	global_wb scope:SCOPE_SE
	s_wait_loadcnt_dscnt 0x0
	s_barrier_signal -1
	s_barrier_wait -1
	global_inv scope:SCOPE_SE
	v_dual_mul_f32 v17, v11, v46 :: v_dual_lshlrev_b32 v66, 3, v12
	v_mul_f32_e32 v12, v5, v46
	v_and_or_b32 v14, 0x3f8, v68, v59
	v_mul_f32_e32 v16, v6, v46
	v_mul_f32_e32 v18, v10, v46
	;; [unrolled: 1-line block ×3, first 2 shown]
	v_fma_f32 v10, v10, v45, -v17
	s_delay_alu instid0(VALU_DEP_4) | instskip(SKIP_4) | instid1(VALU_DEP_4)
	v_dual_fmac_f32 v16, v7, v45 :: v_dual_lshlrev_b32 v65, 3, v14
	v_mul_f32_e32 v14, v4, v46
	v_fma_f32 v4, v4, v45, -v12
	v_fmac_f32_e32 v18, v11, v45
	v_fma_f32 v6, v6, v45, -v15
	v_dual_sub_f32 v7, v3, v16 :: v_dual_fmac_f32 v14, v5, v45
	s_delay_alu instid0(VALU_DEP_3) | instskip(SKIP_1) | instid1(VALU_DEP_4)
	v_dual_sub_f32 v4, v0, v4 :: v_dual_sub_f32 v11, v9, v18
	v_sub_f32_e32 v10, v8, v10
	v_sub_f32_e32 v6, v2, v6
	s_delay_alu instid0(VALU_DEP_4) | instskip(NEXT) | instid1(VALU_DEP_4)
	v_sub_f32_e32 v5, v1, v14
	v_fma_f32 v0, v0, 2.0, -v4
	v_fma_f32 v9, v9, 2.0, -v11
	;; [unrolled: 1-line block ×6, first 2 shown]
	ds_store_2addr_b64 v66, v[0:1], v[4:5] offset1:4
	ds_store_2addr_b64 v65, v[2:3], v[6:7] offset1:4
	s_and_saveexec_b32 s0, vcc_lo
	s_cbranch_execz .LBB0_15
; %bb.14:
	v_and_or_b32 v0, 0x7f8, v57, v59
	s_delay_alu instid0(VALU_DEP_1)
	v_lshlrev_b32_e32 v0, 3, v0
	ds_store_2addr_b64 v0, v[8:9], v[10:11] offset1:4
.LBB0_15:
	s_wait_alu 0xfffe
	s_or_b32 exec_lo, exec_lo, s0
	v_add_nc_u32_e32 v4, 0x1100, v55
	global_wb scope:SCOPE_SE
	s_wait_dscnt 0x0
	s_barrier_signal -1
	s_barrier_wait -1
	global_inv scope:SCOPE_SE
	ds_load_2addr_b64 v[0:3], v55 offset1:224
	ds_load_2addr_b64 v[4:7], v4 offset0:16 offset1:240
	s_and_saveexec_b32 s0, vcc_lo
	s_cbranch_execz .LBB0_17
; %bb.16:
	ds_load_b64 v[8:9], v55 offset:3584
	ds_load_b64 v[10:11], v55 offset:8064
.LBB0_17:
	s_wait_alu 0xfffe
	s_or_b32 exec_lo, exec_lo, s0
	v_and_b32_e32 v62, 7, v56
	s_delay_alu instid0(VALU_DEP_1)
	v_lshlrev_b32_e32 v12, 3, v62
	v_and_or_b32 v14, 0x3f0, v68, v62
	global_load_b64 v[47:48], v12, s[2:3] offset:48
	v_and_or_b32 v12, 0x1f0, v13, v62
	v_lshlrev_b32_e32 v69, 3, v14
	global_wb scope:SCOPE_SE
	s_wait_loadcnt_dscnt 0x0
	s_barrier_signal -1
	s_barrier_wait -1
	global_inv scope:SCOPE_SE
	v_mul_f32_e32 v18, v10, v48
	v_mul_f32_e32 v14, v4, v48
	v_mul_f32_e32 v17, v11, v48
	v_mul_f32_e32 v15, v7, v48
	v_mul_f32_e32 v16, v6, v48
	v_fmac_f32_e32 v18, v11, v47
	v_fmac_f32_e32 v14, v5, v47
	v_lshlrev_b32_e32 v70, 3, v12
	v_mul_f32_e32 v12, v5, v48
	v_fma_f32 v10, v10, v47, -v17
	v_sub_f32_e32 v11, v9, v18
	v_fma_f32 v6, v6, v47, -v15
	v_fmac_f32_e32 v16, v7, v47
	v_fma_f32 v4, v4, v47, -v12
	v_sub_f32_e32 v5, v1, v14
	v_sub_f32_e32 v10, v8, v10
	s_delay_alu instid0(VALU_DEP_4) | instskip(NEXT) | instid1(VALU_DEP_4)
	v_dual_sub_f32 v6, v2, v6 :: v_dual_sub_f32 v7, v3, v16
	v_sub_f32_e32 v4, v0, v4
	s_delay_alu instid0(VALU_DEP_4) | instskip(NEXT) | instid1(VALU_DEP_4)
	v_fma_f32 v1, v1, 2.0, -v5
	v_fma_f32 v8, v8, 2.0, -v10
	v_fma_f32 v9, v9, 2.0, -v11
	v_fma_f32 v2, v2, 2.0, -v6
	v_fma_f32 v0, v0, 2.0, -v4
	v_fma_f32 v3, v3, 2.0, -v7
	ds_store_2addr_b64 v70, v[0:1], v[4:5] offset1:8
	ds_store_2addr_b64 v69, v[2:3], v[6:7] offset1:8
	s_and_saveexec_b32 s0, vcc_lo
	s_cbranch_execz .LBB0_19
; %bb.18:
	v_and_or_b32 v0, 0x7f0, v57, v62
	s_delay_alu instid0(VALU_DEP_1)
	v_lshlrev_b32_e32 v0, 3, v0
	ds_store_2addr_b64 v0, v[8:9], v[10:11] offset1:8
.LBB0_19:
	s_wait_alu 0xfffe
	s_or_b32 exec_lo, exec_lo, s0
	v_add_nc_u32_e32 v4, 0x1100, v55
	global_wb scope:SCOPE_SE
	s_wait_dscnt 0x0
	s_barrier_signal -1
	s_barrier_wait -1
	global_inv scope:SCOPE_SE
	ds_load_2addr_b64 v[0:3], v55 offset1:224
	ds_load_2addr_b64 v[4:7], v4 offset0:16 offset1:240
	s_and_saveexec_b32 s0, vcc_lo
	s_cbranch_execz .LBB0_21
; %bb.20:
	ds_load_b64 v[8:9], v55 offset:3584
	ds_load_b64 v[10:11], v55 offset:8064
.LBB0_21:
	s_wait_alu 0xfffe
	s_or_b32 exec_lo, exec_lo, s0
	v_and_b32_e32 v67, 15, v56
	s_delay_alu instid0(VALU_DEP_1)
	v_lshlrev_b32_e32 v12, 3, v67
	global_load_b64 v[49:50], v12, s[2:3] offset:112
	v_and_or_b32 v12, 0x1e0, v13, v67
	global_wb scope:SCOPE_SE
	s_wait_loadcnt_dscnt 0x0
	s_barrier_signal -1
	s_barrier_wait -1
	global_inv scope:SCOPE_SE
	v_dual_mul_f32 v14, v7, v50 :: v_dual_lshlrev_b32 v73, 3, v12
	v_mul_f32_e32 v12, v5, v50
	v_and_or_b32 v13, 0x3e0, v68, v67
	v_mul_f32_e32 v17, v10, v50
	s_delay_alu instid0(VALU_DEP_2)
	v_dual_mul_f32 v16, v11, v50 :: v_dual_lshlrev_b32 v71, 3, v13
	v_mul_f32_e32 v13, v4, v50
	v_fma_f32 v4, v4, v49, -v12
	v_mul_f32_e32 v15, v6, v50
	v_fma_f32 v6, v6, v49, -v14
	v_fma_f32 v10, v10, v49, -v16
	s_delay_alu instid0(VALU_DEP_4) | instskip(NEXT) | instid1(VALU_DEP_4)
	v_dual_fmac_f32 v13, v5, v49 :: v_dual_sub_f32 v4, v0, v4
	v_fmac_f32_e32 v15, v7, v49
	s_delay_alu instid0(VALU_DEP_3) | instskip(NEXT) | instid1(VALU_DEP_3)
	v_dual_fmac_f32 v17, v11, v49 :: v_dual_sub_f32 v22, v8, v10
	v_dual_sub_f32 v6, v2, v6 :: v_dual_sub_f32 v5, v1, v13
	s_delay_alu instid0(VALU_DEP_3) | instskip(SKIP_1) | instid1(VALU_DEP_4)
	v_sub_f32_e32 v7, v3, v15
	v_fma_f32 v0, v0, 2.0, -v4
	v_sub_f32_e32 v23, v9, v17
	s_delay_alu instid0(VALU_DEP_4)
	v_fma_f32 v2, v2, 2.0, -v6
	v_fma_f32 v1, v1, 2.0, -v5
	;; [unrolled: 1-line block ×3, first 2 shown]
	ds_store_2addr_b64 v73, v[0:1], v[4:5] offset1:16
	ds_store_2addr_b64 v71, v[2:3], v[6:7] offset1:16
	s_and_saveexec_b32 s0, vcc_lo
	s_cbranch_execz .LBB0_23
; %bb.22:
	v_and_or_b32 v2, 0x7e0, v57, v67
	v_fma_f32 v1, v9, 2.0, -v23
	v_fma_f32 v0, v8, 2.0, -v22
	s_delay_alu instid0(VALU_DEP_3)
	v_lshlrev_b32_e32 v2, 3, v2
	ds_store_2addr_b64 v2, v[0:1], v[22:23] offset1:16
.LBB0_23:
	s_wait_alu 0xfffe
	s_or_b32 exec_lo, exec_lo, s0
	v_and_b32_e32 v18, 31, v56
	global_wb scope:SCOPE_SE
	s_wait_dscnt 0x0
	s_barrier_signal -1
	s_barrier_wait -1
	global_inv scope:SCOPE_SE
	v_lshlrev_b32_e32 v0, 5, v18
	v_lshrrev_b32_e32 v19, 5, v56
	v_cmp_gt_u16_e64 s0, 0xa0, v56
	s_clause 0x1
	global_load_b128 v[4:7], v0, s[2:3] offset:240
	global_load_b128 v[0:3], v0, s[2:3] offset:256
	v_add_nc_u32_e32 v12, 0xe00, v55
	v_mul_u32_u24_e32 v19, 0xa0, v19
	ds_load_2addr_b64 v[8:11], v55 offset1:224
	ds_load_2addr_b64 v[12:15], v12 offset1:224
	ds_load_b64 v[16:17], v55 offset:7168
	v_or_b32_e32 v18, v19, v18
	global_wb scope:SCOPE_SE
	s_wait_loadcnt_dscnt 0x0
	s_barrier_signal -1
	s_barrier_wait -1
	global_inv scope:SCOPE_SE
	v_dual_mul_f32 v19, v10, v5 :: v_dual_lshlrev_b32 v72, 3, v18
	v_mul_f32_e32 v51, v16, v3
	v_mul_f32_e32 v20, v13, v7
	v_dual_mul_f32 v21, v12, v7 :: v_dual_mul_f32 v18, v11, v5
	s_delay_alu instid0(VALU_DEP_3) | instskip(SKIP_4) | instid1(VALU_DEP_4)
	v_dual_mul_f32 v24, v15, v1 :: v_dual_fmac_f32 v51, v17, v2
	v_dual_mul_f32 v25, v14, v1 :: v_dual_mul_f32 v26, v17, v3
	v_fmac_f32_e32 v19, v11, v4
	v_fma_f32 v11, v12, v6, -v20
	v_fmac_f32_e32 v21, v13, v6
	v_fmac_f32_e32 v25, v15, v0
	v_fma_f32 v10, v10, v4, -v18
	v_fma_f32 v12, v14, v0, -v24
	;; [unrolled: 1-line block ×3, first 2 shown]
	v_add_f32_e32 v29, v9, v19
	s_delay_alu instid0(VALU_DEP_4) | instskip(NEXT) | instid1(VALU_DEP_3)
	v_dual_add_f32 v31, v21, v25 :: v_dual_add_f32 v14, v8, v10
	v_dual_add_f32 v15, v11, v12 :: v_dual_add_f32 v26, v10, v13
	v_dual_sub_f32 v16, v19, v51 :: v_dual_sub_f32 v17, v21, v25
	v_dual_sub_f32 v18, v10, v11 :: v_dual_sub_f32 v27, v11, v10
	;; [unrolled: 1-line block ×3, first 2 shown]
	v_sub_f32_e32 v28, v12, v13
	v_dual_sub_f32 v10, v10, v13 :: v_dual_sub_f32 v75, v25, v51
	v_sub_f32_e32 v52, v11, v12
	v_add_f32_e32 v74, v19, v51
	v_sub_f32_e32 v19, v21, v19
	v_fma_f32 v20, -0.5, v15, v8
	v_add_f32_e32 v15, v29, v21
	v_fma_f32 v21, -0.5, v31, v9
	v_dual_sub_f32 v54, v51, v25 :: v_dual_add_f32 v11, v14, v11
	v_fma_f32 v30, -0.5, v26, v8
	s_delay_alu instid0(VALU_DEP_3)
	v_dual_add_f32 v8, v27, v28 :: v_dual_fmamk_f32 v27, v10, 0xbf737871, v21
	v_fma_f32 v31, -0.5, v74, v9
	v_dual_add_f32 v14, v18, v24 :: v_dual_add_f32 v9, v19, v75
	v_dual_add_f32 v18, v53, v54 :: v_dual_add_f32 v11, v11, v12
	v_dual_fmamk_f32 v26, v16, 0x3f737871, v20 :: v_dual_fmac_f32 v21, 0x3f737871, v10
	v_fmamk_f32 v28, v17, 0xbf737871, v30
	v_dual_fmac_f32 v30, 0x3f737871, v17 :: v_dual_fmamk_f32 v29, v52, 0x3f737871, v31
	v_dual_add_f32 v12, v15, v25 :: v_dual_fmac_f32 v27, 0xbf167918, v52
	v_fmac_f32_e32 v20, 0xbf737871, v16
	v_dual_fmac_f32 v31, 0xbf737871, v52 :: v_dual_add_f32 v24, v11, v13
	v_dual_fmac_f32 v21, 0x3f167918, v52 :: v_dual_fmac_f32 v26, 0x3f167918, v17
	s_delay_alu instid0(VALU_DEP_2) | instskip(SKIP_2) | instid1(VALU_DEP_4)
	v_dual_fmac_f32 v28, 0x3f167918, v16 :: v_dual_fmac_f32 v31, 0x3f167918, v10
	v_dual_fmac_f32 v30, 0xbf167918, v16 :: v_dual_add_f32 v25, v12, v51
	v_dual_fmac_f32 v20, 0xbf167918, v17 :: v_dual_fmac_f32 v29, 0xbf167918, v10
	v_fmac_f32_e32 v26, 0x3e9e377a, v14
	s_delay_alu instid0(VALU_DEP_4) | instskip(NEXT) | instid1(VALU_DEP_3)
	v_dual_fmac_f32 v28, 0x3e9e377a, v8 :: v_dual_fmac_f32 v27, 0x3e9e377a, v18
	v_dual_fmac_f32 v20, 0x3e9e377a, v14 :: v_dual_fmac_f32 v31, 0x3e9e377a, v9
	;; [unrolled: 1-line block ×3, first 2 shown]
	v_fmac_f32_e32 v29, 0x3e9e377a, v9
	ds_store_2addr_b64 v72, v[24:25], v[26:27] offset1:32
	ds_store_2addr_b64 v72, v[28:29], v[30:31] offset0:64 offset1:96
	ds_store_b64 v72, v[20:21] offset:1024
	global_wb scope:SCOPE_SE
	s_wait_dscnt 0x0
	s_barrier_signal -1
	s_barrier_wait -1
	global_inv scope:SCOPE_SE
                                        ; implicit-def: $vgpr51
	s_and_saveexec_b32 s1, s0
	s_cbranch_execz .LBB0_25
; %bb.24:
	v_add_nc_u32_e32 v8, 0x800, v55
	v_add_nc_u32_e32 v9, 0x1400, v55
	ds_load_2addr_b64 v[24:27], v55 offset1:160
	ds_load_2addr_b64 v[28:31], v8 offset0:64 offset1:224
	ds_load_2addr_b64 v[20:23], v9 offset1:160
	ds_load_b64 v[51:52], v55 offset:7680
.LBB0_25:
	s_wait_alu 0xfffe
	s_or_b32 exec_lo, exec_lo, s1
	v_add_nc_u32_e32 v8, 0xffffff60, v56
	s_delay_alu instid0(VALU_DEP_1) | instskip(NEXT) | instid1(VALU_DEP_1)
	v_cndmask_b32_e64 v8, v8, v56, s0
	v_mul_i32_i24_e32 v9, 48, v8
	v_mul_hi_i32_i24_e32 v8, 48, v8
	s_delay_alu instid0(VALU_DEP_2) | instskip(SKIP_1) | instid1(VALU_DEP_2)
	v_add_co_u32 v16, s1, s2, v9
	s_wait_alu 0xf1ff
	v_add_co_ci_u32_e64 v17, s1, s3, v8, s1
	s_clause 0x2
	global_load_b128 v[12:15], v[16:17], off offset:1264
	global_load_b128 v[8:11], v[16:17], off offset:1280
	;; [unrolled: 1-line block ×3, first 2 shown]
	s_wait_loadcnt_dscnt 0x203
	v_mul_f32_e32 v53, v27, v13
	s_wait_dscnt 0x2
	v_dual_mul_f32 v54, v26, v13 :: v_dual_mul_f32 v75, v28, v15
	s_wait_loadcnt 0x1
	v_dual_mul_f32 v74, v29, v15 :: v_dual_mul_f32 v77, v30, v9
	s_wait_loadcnt_dscnt 0x0
	v_mul_f32_e32 v82, v52, v19
	v_dual_mul_f32 v76, v31, v9 :: v_dual_mul_f32 v79, v20, v11
	v_dual_mul_f32 v78, v21, v11 :: v_dual_mul_f32 v81, v22, v17
	v_dual_mul_f32 v80, v23, v17 :: v_dual_fmac_f32 v75, v29, v14
	v_fma_f32 v26, v26, v12, -v53
	v_fmac_f32_e32 v77, v31, v8
	v_fma_f32 v29, v51, v18, -v82
	v_mul_f32_e32 v83, v51, v19
	v_fma_f32 v20, v20, v10, -v78
	v_fmac_f32_e32 v79, v21, v10
	v_fma_f32 v21, v22, v16, -v80
	v_add_f32_e32 v22, v26, v29
	v_sub_f32_e32 v26, v26, v29
	v_dual_fmac_f32 v54, v27, v12 :: v_dual_fmac_f32 v83, v52, v18
	v_fma_f32 v27, v28, v14, -v74
	v_fma_f32 v28, v30, v8, -v76
	v_dual_fmac_f32 v81, v23, v16 :: v_dual_add_f32 v52, v77, v79
	s_delay_alu instid0(VALU_DEP_3) | instskip(SKIP_1) | instid1(VALU_DEP_3)
	v_dual_add_f32 v23, v54, v83 :: v_dual_add_f32 v30, v27, v21
	v_sub_f32_e32 v29, v54, v83
	v_add_f32_e32 v31, v75, v81
	v_add_f32_e32 v51, v28, v20
	v_sub_f32_e32 v20, v20, v28
	v_sub_f32_e32 v28, v79, v77
	;; [unrolled: 1-line block ×3, first 2 shown]
	v_dual_sub_f32 v27, v75, v81 :: v_dual_sub_f32 v74, v30, v22
	v_dual_add_f32 v53, v30, v22 :: v_dual_add_f32 v54, v31, v23
	v_sub_f32_e32 v22, v22, v51
	s_delay_alu instid0(VALU_DEP_4) | instskip(SKIP_4) | instid1(VALU_DEP_4)
	v_dual_sub_f32 v75, v31, v23 :: v_dual_add_f32 v76, v20, v21
	v_dual_sub_f32 v23, v23, v52 :: v_dual_sub_f32 v78, v20, v21
	v_dual_sub_f32 v30, v51, v30 :: v_dual_sub_f32 v31, v52, v31
	v_dual_sub_f32 v20, v26, v20 :: v_dual_add_f32 v77, v28, v27
	v_dual_sub_f32 v80, v29, v28 :: v_dual_sub_f32 v79, v28, v27
	v_dual_sub_f32 v21, v21, v26 :: v_dual_mul_f32 v28, 0x3f4a47b2, v23
	v_dual_sub_f32 v27, v27, v29 :: v_dual_add_f32 v52, v52, v54
	v_add_f32_e32 v51, v51, v53
	v_dual_add_f32 v53, v76, v26 :: v_dual_mul_f32 v76, 0x3d64c772, v31
	v_mul_f32_e32 v26, 0x3f4a47b2, v22
	v_dual_add_f32 v54, v77, v29 :: v_dual_mul_f32 v29, 0x3d64c772, v30
	s_delay_alu instid0(VALU_DEP_4) | instskip(SKIP_1) | instid1(VALU_DEP_4)
	v_dual_add_f32 v22, v24, v51 :: v_dual_mul_f32 v77, 0xbf08b237, v78
	v_dual_mul_f32 v78, 0xbf08b237, v79 :: v_dual_add_f32 v23, v25, v52
	v_fmamk_f32 v30, v30, 0x3d64c772, v26
	v_mul_f32_e32 v79, 0x3f5ff5aa, v21
	v_fmamk_f32 v82, v31, 0x3d64c772, v28
	v_fma_f32 v31, 0x3f3bfb3b, v74, -v29
	v_fma_f32 v76, 0x3f3bfb3b, v75, -v76
	v_fma_f32 v74, 0xbf3bfb3b, v74, -v26
	v_fma_f32 v75, 0xbf3bfb3b, v75, -v28
	v_fmamk_f32 v24, v20, 0x3eae86e6, v77
	v_fma_f32 v26, 0x3f5ff5aa, v21, -v77
	v_fma_f32 v28, 0xbeae86e6, v20, -v79
	v_dual_fmamk_f32 v20, v51, 0xbf955555, v22 :: v_dual_fmamk_f32 v21, v52, 0xbf955555, v23
	v_mul_f32_e32 v81, 0x3f5ff5aa, v27
	v_fmamk_f32 v25, v80, 0x3eae86e6, v78
	v_fma_f32 v27, 0x3f5ff5aa, v27, -v78
	s_delay_alu instid0(VALU_DEP_4) | instskip(SKIP_4) | instid1(VALU_DEP_3)
	v_add_f32_e32 v74, v74, v20
	v_add_f32_e32 v76, v76, v21
	v_fma_f32 v29, 0xbeae86e6, v80, -v81
	v_dual_fmac_f32 v25, 0x3ee1c552, v54 :: v_dual_fmac_f32 v26, 0x3ee1c552, v53
	v_dual_fmac_f32 v27, 0x3ee1c552, v54 :: v_dual_fmac_f32 v28, 0x3ee1c552, v53
	v_dual_fmac_f32 v29, 0x3ee1c552, v54 :: v_dual_add_f32 v30, v30, v20
	v_dual_add_f32 v31, v31, v20 :: v_dual_fmac_f32 v24, 0x3ee1c552, v53
	v_add_f32_e32 v77, v75, v21
	v_add_f32_e32 v75, v82, v21
	s_delay_alu instid0(VALU_DEP_3) | instskip(SKIP_1) | instid1(VALU_DEP_3)
	v_dual_sub_f32 v21, v76, v26 :: v_dual_add_f32 v20, v27, v31
	v_sub_f32_e32 v53, v74, v29
	v_dual_sub_f32 v51, v30, v25 :: v_dual_add_f32 v52, v24, v75
	v_add_f32_e32 v54, v28, v77
	s_and_saveexec_b32 s1, s0
	s_cbranch_execz .LBB0_27
; %bb.26:
	v_dual_add_f32 v79, v26, v76 :: v_dual_sub_f32 v78, v31, v27
	v_sub_f32_e32 v27, v77, v28
	v_dual_add_f32 v26, v29, v74 :: v_dual_sub_f32 v29, v75, v24
	v_dual_add_f32 v28, v25, v30 :: v_dual_add_nc_u32 v25, 0x1400, v55
	v_add_nc_u32_e32 v24, 0x800, v55
	ds_store_2addr_b64 v55, v[22:23], v[28:29] offset1:160
	ds_store_2addr_b64 v24, v[26:27], v[78:79] offset0:64 offset1:224
	ds_store_2addr_b64 v25, v[20:21], v[53:54] offset1:160
	ds_store_b64 v55, v[51:52] offset:7680
.LBB0_27:
	s_wait_alu 0xfffe
	s_or_b32 exec_lo, exec_lo, s1
	s_add_nc_u64 s[2:3], s[16:17], 0x2300
	global_wb scope:SCOPE_SE
	s_wait_dscnt 0x0
	s_barrier_signal -1
	s_barrier_wait -1
	global_inv scope:SCOPE_SE
	s_clause 0x3
	global_load_b64 v[26:27], v[33:34], off offset:8960
	global_load_b64 v[28:29], v55, s[2:3] offset:6272
	global_load_b64 v[30:31], v55, s[2:3] offset:1792
	;; [unrolled: 1-line block ×3, first 2 shown]
	ds_load_2addr_b64 v[22:25], v55 offset1:224
	s_wait_loadcnt_dscnt 0x300
	v_mul_f32_e32 v77, v22, v27
	s_wait_loadcnt 0x1
	v_mul_f32_e32 v79, v24, v31
	v_mul_f32_e32 v76, v23, v27
	;; [unrolled: 1-line block ×3, first 2 shown]
	v_fmac_f32_e32 v77, v23, v26
	s_delay_alu instid0(VALU_DEP_4) | instskip(NEXT) | instid1(VALU_DEP_4)
	v_fmac_f32_e32 v79, v25, v30
	v_fma_f32 v76, v22, v26, -v76
	v_add_nc_u32_e32 v22, 0x1100, v55
	v_fma_f32 v78, v24, v30, -v27
	ds_store_b64 v55, v[76:77]
	ds_load_2addr_b64 v[23:26], v22 offset0:16 offset1:240
	s_wait_loadcnt_dscnt 0x0
	v_mul_f32_e32 v27, v24, v75
	v_dual_mul_f32 v30, v23, v75 :: v_dual_mul_f32 v31, v26, v29
	v_mul_f32_e32 v75, v25, v29
	s_delay_alu instid0(VALU_DEP_3) | instskip(NEXT) | instid1(VALU_DEP_3)
	v_fma_f32 v29, v23, v74, -v27
	v_fmac_f32_e32 v30, v24, v74
	s_delay_alu instid0(VALU_DEP_4) | instskip(NEXT) | instid1(VALU_DEP_4)
	v_fma_f32 v74, v25, v28, -v31
	v_fmac_f32_e32 v75, v26, v28
	ds_store_b64 v55, v[78:79] offset:1792
	ds_store_2addr_b64 v22, v[29:30], v[74:75] offset0:16 offset1:240
	s_and_saveexec_b32 s1, vcc_lo
	s_cbranch_execz .LBB0_29
; %bb.28:
	s_wait_alu 0xfffe
	v_add_co_u32 v23, s2, s2, v55
	s_wait_alu 0xf1ff
	v_add_co_ci_u32_e64 v24, null, s3, 0, s2
	s_clause 0x1
	global_load_b64 v[25:26], v[23:24], off offset:3584
	global_load_b64 v[23:24], v[23:24], off offset:8064
	ds_load_b64 v[27:28], v55 offset:3584
	ds_load_b64 v[29:30], v55 offset:8064
	s_wait_loadcnt_dscnt 0x0
	v_dual_mul_f32 v31, v28, v26 :: v_dual_mul_f32 v76, v30, v24
	v_dual_mul_f32 v75, v27, v26 :: v_dual_mul_f32 v26, v29, v24
	s_delay_alu instid0(VALU_DEP_2) | instskip(NEXT) | instid1(VALU_DEP_2)
	v_fma_f32 v74, v27, v25, -v31
	v_dual_fmac_f32 v75, v28, v25 :: v_dual_fmac_f32 v26, v30, v23
	s_delay_alu instid0(VALU_DEP_4)
	v_fma_f32 v25, v29, v23, -v76
	ds_store_b64 v55, v[74:75] offset:3584
	ds_store_b64 v55, v[25:26] offset:8064
.LBB0_29:
	s_wait_alu 0xfffe
	s_or_b32 exec_lo, exec_lo, s1
	global_wb scope:SCOPE_SE
	s_wait_dscnt 0x0
	s_barrier_signal -1
	s_barrier_wait -1
	global_inv scope:SCOPE_SE
	ds_load_2addr_b64 v[23:26], v55 offset1:224
	ds_load_2addr_b64 v[27:30], v22 offset0:16 offset1:240
	v_lshlrev_b32_e32 v31, 3, v68
	s_and_saveexec_b32 s1, vcc_lo
	s_cbranch_execz .LBB0_31
; %bb.30:
	ds_load_b64 v[20:21], v55 offset:3584
	ds_load_b64 v[53:54], v55 offset:8064
.LBB0_31:
	s_wait_alu 0xfffe
	s_or_b32 exec_lo, exec_lo, s1
	s_wait_dscnt 0x0
	v_dual_sub_f32 v76, v23, v27 :: v_dual_sub_f32 v77, v24, v28
	v_sub_f32_e32 v22, v20, v53
	v_dual_sub_f32 v27, v25, v29 :: v_dual_sub_f32 v28, v26, v30
	s_delay_alu instid0(VALU_DEP_3)
	v_fma_f32 v74, v23, 2.0, -v76
	v_sub_f32_e32 v23, v21, v54
	v_fma_f32 v75, v24, 2.0, -v77
	v_fma_f32 v20, v20, 2.0, -v22
	;; [unrolled: 1-line block ×5, first 2 shown]
	global_wb scope:SCOPE_SE
	s_barrier_signal -1
	s_barrier_wait -1
	global_inv scope:SCOPE_SE
	ds_store_b128 v61, v[74:77]
	ds_store_b128 v31, v[25:28]
	s_and_saveexec_b32 s1, vcc_lo
	s_cbranch_execz .LBB0_33
; %bb.32:
	ds_store_b128 v60, v[20:23]
.LBB0_33:
	s_wait_alu 0xfffe
	s_or_b32 exec_lo, exec_lo, s1
	v_add_nc_u32_e32 v28, 0x1100, v55
	global_wb scope:SCOPE_SE
	s_wait_dscnt 0x0
	s_barrier_signal -1
	s_barrier_wait -1
	global_inv scope:SCOPE_SE
	ds_load_2addr_b64 v[24:27], v55 offset1:224
	ds_load_2addr_b64 v[28:31], v28 offset0:16 offset1:240
	s_and_saveexec_b32 s1, vcc_lo
	s_cbranch_execz .LBB0_35
; %bb.34:
	ds_load_b64 v[20:21], v55 offset:3584
	ds_load_b64 v[22:23], v55 offset:8064
.LBB0_35:
	s_wait_alu 0xfffe
	s_or_b32 exec_lo, exec_lo, s1
	s_wait_dscnt 0x0
	v_mul_f32_e32 v60, v44, v31
	v_mul_f32_e32 v53, v44, v29
	;; [unrolled: 1-line block ×3, first 2 shown]
	global_wb scope:SCOPE_SE
	s_barrier_signal -1
	v_fmac_f32_e32 v60, v43, v30
	v_fmac_f32_e32 v53, v43, v28
	v_fma_f32 v30, v43, v31, -v61
	v_mul_f32_e32 v54, v44, v28
	v_mul_f32_e32 v28, v44, v22
	s_barrier_wait -1
	global_inv scope:SCOPE_SE
	v_fma_f32 v28, v43, v23, -v28
	v_dual_mul_f32 v68, v44, v23 :: v_dual_sub_f32 v23, v27, v30
	v_fma_f32 v29, v43, v29, -v54
	s_delay_alu instid0(VALU_DEP_3) | instskip(NEXT) | instid1(VALU_DEP_3)
	v_sub_f32_e32 v31, v21, v28
	v_dual_sub_f32 v53, v24, v53 :: v_dual_fmac_f32 v68, v43, v22
	s_delay_alu instid0(VALU_DEP_3) | instskip(SKIP_1) | instid1(VALU_DEP_4)
	v_sub_f32_e32 v54, v25, v29
	v_sub_f32_e32 v22, v26, v60
	v_fma_f32 v29, v21, 2.0, -v31
	s_delay_alu instid0(VALU_DEP_4)
	v_fma_f32 v24, v24, 2.0, -v53
	v_sub_f32_e32 v30, v20, v68
	v_fma_f32 v25, v25, 2.0, -v54
	v_fma_f32 v26, v26, 2.0, -v22
	;; [unrolled: 1-line block ×3, first 2 shown]
	ds_store_2addr_b64 v64, v[24:25], v[53:54] offset1:2
	ds_store_2addr_b64 v63, v[26:27], v[22:23] offset1:2
	v_fma_f32 v28, v20, 2.0, -v30
	s_and_saveexec_b32 s1, vcc_lo
	s_cbranch_execz .LBB0_37
; %bb.36:
	v_and_or_b32 v20, 0x7fc, v57, v58
	s_delay_alu instid0(VALU_DEP_1)
	v_lshlrev_b32_e32 v20, 3, v20
	ds_store_2addr_b64 v20, v[28:29], v[30:31] offset1:2
.LBB0_37:
	s_wait_alu 0xfffe
	s_or_b32 exec_lo, exec_lo, s1
	v_add_nc_u32_e32 v24, 0x1100, v55
	global_wb scope:SCOPE_SE
	s_wait_dscnt 0x0
	s_barrier_signal -1
	s_barrier_wait -1
	global_inv scope:SCOPE_SE
	ds_load_2addr_b64 v[20:23], v55 offset1:224
	ds_load_2addr_b64 v[24:27], v24 offset0:16 offset1:240
	s_and_saveexec_b32 s1, vcc_lo
	s_cbranch_execz .LBB0_39
; %bb.38:
	ds_load_b64 v[28:29], v55 offset:3584
	ds_load_b64 v[30:31], v55 offset:8064
.LBB0_39:
	s_wait_alu 0xfffe
	s_or_b32 exec_lo, exec_lo, s1
	s_wait_dscnt 0x0
	v_mul_f32_e32 v58, v46, v31
	v_mul_f32_e32 v43, v46, v25
	global_wb scope:SCOPE_SE
	s_barrier_signal -1
	s_barrier_wait -1
	v_fmac_f32_e32 v58, v45, v30
	v_dual_mul_f32 v54, v46, v26 :: v_dual_fmac_f32 v43, v45, v24
	v_mul_f32_e32 v53, v46, v27
	v_mul_f32_e32 v44, v46, v24
	global_inv scope:SCOPE_SE
	v_fma_f32 v27, v45, v27, -v54
	v_mul_f32_e32 v46, v46, v30
	v_sub_f32_e32 v30, v28, v58
	v_fmac_f32_e32 v53, v45, v26
	v_fma_f32 v25, v45, v25, -v44
	v_sub_f32_e32 v27, v23, v27
	v_fma_f32 v31, v45, v31, -v46
	v_sub_f32_e32 v24, v20, v43
	v_sub_f32_e32 v26, v22, v53
	;; [unrolled: 1-line block ×3, first 2 shown]
	v_fma_f32 v28, v28, 2.0, -v30
	v_sub_f32_e32 v31, v29, v31
	v_fma_f32 v20, v20, 2.0, -v24
	v_fma_f32 v22, v22, 2.0, -v26
	;; [unrolled: 1-line block ×5, first 2 shown]
	ds_store_2addr_b64 v66, v[20:21], v[24:25] offset1:4
	ds_store_2addr_b64 v65, v[22:23], v[26:27] offset1:4
	s_and_saveexec_b32 s1, vcc_lo
	s_cbranch_execz .LBB0_41
; %bb.40:
	v_and_or_b32 v20, 0x7f8, v57, v59
	s_delay_alu instid0(VALU_DEP_1)
	v_lshlrev_b32_e32 v20, 3, v20
	ds_store_2addr_b64 v20, v[28:29], v[30:31] offset1:4
.LBB0_41:
	s_wait_alu 0xfffe
	s_or_b32 exec_lo, exec_lo, s1
	v_add_nc_u32_e32 v24, 0x1100, v55
	global_wb scope:SCOPE_SE
	s_wait_dscnt 0x0
	s_barrier_signal -1
	s_barrier_wait -1
	global_inv scope:SCOPE_SE
	ds_load_2addr_b64 v[20:23], v55 offset1:224
	ds_load_2addr_b64 v[24:27], v24 offset0:16 offset1:240
	s_and_saveexec_b32 s1, vcc_lo
	s_cbranch_execz .LBB0_43
; %bb.42:
	ds_load_b64 v[28:29], v55 offset:3584
	ds_load_b64 v[30:31], v55 offset:8064
.LBB0_43:
	s_wait_alu 0xfffe
	s_or_b32 exec_lo, exec_lo, s1
	s_wait_dscnt 0x0
	v_mul_f32_e32 v43, v48, v25
	v_mul_f32_e32 v45, v48, v27
	;; [unrolled: 1-line block ×4, first 2 shown]
	global_wb scope:SCOPE_SE
	v_fmac_f32_e32 v43, v47, v24
	v_fmac_f32_e32 v45, v47, v26
	v_mul_f32_e32 v53, v48, v31
	v_fma_f32 v25, v47, v25, -v44
	v_mul_f32_e32 v48, v48, v30
	v_fma_f32 v27, v47, v27, -v46
	v_sub_f32_e32 v26, v22, v45
	v_dual_sub_f32 v24, v20, v43 :: v_dual_fmac_f32 v53, v47, v30
	v_sub_f32_e32 v25, v21, v25
	v_fma_f32 v31, v47, v31, -v48
	v_sub_f32_e32 v27, v23, v27
	s_delay_alu instid0(VALU_DEP_4)
	v_fma_f32 v20, v20, 2.0, -v24
	v_sub_f32_e32 v30, v28, v53
	v_fma_f32 v21, v21, 2.0, -v25
	v_sub_f32_e32 v31, v29, v31
	v_fma_f32 v22, v22, 2.0, -v26
	v_fma_f32 v23, v23, 2.0, -v27
	;; [unrolled: 1-line block ×3, first 2 shown]
	s_barrier_signal -1
	v_fma_f32 v29, v29, 2.0, -v31
	s_barrier_wait -1
	global_inv scope:SCOPE_SE
	ds_store_2addr_b64 v70, v[20:21], v[24:25] offset1:8
	ds_store_2addr_b64 v69, v[22:23], v[26:27] offset1:8
	s_and_saveexec_b32 s1, vcc_lo
	s_cbranch_execz .LBB0_45
; %bb.44:
	v_and_or_b32 v20, 0x7f0, v57, v62
	s_delay_alu instid0(VALU_DEP_1)
	v_lshlrev_b32_e32 v20, 3, v20
	ds_store_2addr_b64 v20, v[28:29], v[30:31] offset1:8
.LBB0_45:
	s_wait_alu 0xfffe
	s_or_b32 exec_lo, exec_lo, s1
	v_add_nc_u32_e32 v24, 0x1100, v55
	global_wb scope:SCOPE_SE
	s_wait_dscnt 0x0
	s_barrier_signal -1
	s_barrier_wait -1
	global_inv scope:SCOPE_SE
	ds_load_2addr_b64 v[20:23], v55 offset1:224
	ds_load_2addr_b64 v[24:27], v24 offset0:16 offset1:240
	s_and_saveexec_b32 s1, vcc_lo
	s_cbranch_execz .LBB0_47
; %bb.46:
	ds_load_b64 v[28:29], v55 offset:3584
	ds_load_b64 v[30:31], v55 offset:8064
.LBB0_47:
	s_wait_alu 0xfffe
	s_or_b32 exec_lo, exec_lo, s1
	s_wait_dscnt 0x0
	v_mul_f32_e32 v47, v50, v31
	v_mul_f32_e32 v45, v50, v27
	;; [unrolled: 1-line block ×3, first 2 shown]
	global_wb scope:SCOPE_SE
	s_barrier_signal -1
	v_fmac_f32_e32 v47, v49, v30
	v_mul_f32_e32 v43, v50, v25
	v_mul_f32_e32 v46, v50, v26
	v_fmac_f32_e32 v45, v49, v26
	v_fma_f32 v25, v49, v25, -v44
	s_delay_alu instid0(VALU_DEP_4) | instskip(NEXT) | instid1(VALU_DEP_4)
	v_dual_mul_f32 v30, v50, v30 :: v_dual_fmac_f32 v43, v49, v24
	v_fma_f32 v27, v49, v27, -v46
	s_delay_alu instid0(VALU_DEP_4) | instskip(NEXT) | instid1(VALU_DEP_4)
	v_sub_f32_e32 v26, v22, v45
	v_sub_f32_e32 v25, v21, v25
	s_barrier_wait -1
	v_sub_f32_e32 v24, v20, v43
	v_sub_f32_e32 v27, v23, v27
	v_fma_f32 v43, v49, v31, -v30
	v_fma_f32 v21, v21, 2.0, -v25
	v_fma_f32 v30, v22, 2.0, -v26
	;; [unrolled: 1-line block ×4, first 2 shown]
	v_sub_f32_e32 v22, v28, v47
	v_sub_f32_e32 v23, v29, v43
	global_inv scope:SCOPE_SE
	ds_store_2addr_b64 v73, v[20:21], v[24:25] offset1:16
	ds_store_2addr_b64 v71, v[30:31], v[26:27] offset1:16
	s_and_saveexec_b32 s1, vcc_lo
	s_cbranch_execz .LBB0_49
; %bb.48:
	v_and_or_b32 v24, 0x7e0, v57, v67
	v_fma_f32 v21, v29, 2.0, -v23
	v_fma_f32 v20, v28, 2.0, -v22
	s_delay_alu instid0(VALU_DEP_3)
	v_lshlrev_b32_e32 v24, 3, v24
	ds_store_2addr_b64 v24, v[20:21], v[22:23] offset1:16
.LBB0_49:
	s_wait_alu 0xfffe
	s_or_b32 exec_lo, exec_lo, s1
	global_wb scope:SCOPE_SE
	s_wait_dscnt 0x0
	s_barrier_signal -1
	s_barrier_wait -1
	global_inv scope:SCOPE_SE
	ds_load_2addr_b64 v[24:27], v55 offset1:224
	v_add_nc_u32_e32 v28, 0xe00, v55
	s_wait_dscnt 0x0
	v_mul_f32_e32 v43, v5, v27
	v_mul_f32_e32 v5, v5, v26
	ds_load_b64 v[20:21], v55 offset:7168
	ds_load_2addr_b64 v[28:31], v28 offset1:224
	global_wb scope:SCOPE_SE
	s_wait_dscnt 0x0
	s_barrier_signal -1
	s_barrier_wait -1
	global_inv scope:SCOPE_SE
	v_dual_mul_f32 v44, v3, v21 :: v_dual_fmac_f32 v43, v4, v26
	v_fma_f32 v26, v4, v27, -v5
	v_mul_f32_e32 v4, v7, v28
	s_delay_alu instid0(VALU_DEP_3) | instskip(SKIP_2) | instid1(VALU_DEP_3)
	v_dual_mul_f32 v5, v7, v29 :: v_dual_fmac_f32 v44, v2, v20
	v_mul_f32_e32 v3, v3, v20
	v_mul_f32_e32 v7, v1, v31
	v_fmac_f32_e32 v5, v6, v28
	v_fma_f32 v28, v6, v29, -v4
	v_add_f32_e32 v4, v25, v26
	v_mul_f32_e32 v1, v1, v30
	v_fmac_f32_e32 v7, v0, v30
	s_delay_alu instid0(VALU_DEP_2) | instskip(SKIP_3) | instid1(VALU_DEP_4)
	v_fma_f32 v1, v0, v31, -v1
	v_add_f32_e32 v0, v24, v43
	v_fma_f32 v27, v2, v21, -v3
	v_add_f32_e32 v2, v43, v44
	v_sub_f32_e32 v30, v28, v1
	s_delay_alu instid0(VALU_DEP_3) | instskip(NEXT) | instid1(VALU_DEP_3)
	v_dual_add_f32 v0, v0, v5 :: v_dual_sub_f32 v3, v26, v27
	v_fma_f32 v6, -0.5, v2, v24
	v_dual_sub_f32 v2, v5, v43 :: v_dual_sub_f32 v29, v43, v44
	v_dual_add_f32 v20, v5, v7 :: v_dual_sub_f32 v21, v43, v5
	s_delay_alu instid0(VALU_DEP_4) | instskip(SKIP_2) | instid1(VALU_DEP_4)
	v_add_f32_e32 v0, v0, v7
	v_sub_f32_e32 v31, v44, v7
	v_dual_sub_f32 v43, v7, v44 :: v_dual_add_f32 v46, v28, v1
	v_fma_f32 v20, -0.5, v20, v24
	v_dual_add_f32 v45, v4, v28 :: v_dual_fmamk_f32 v4, v30, 0x3f737871, v6
	s_delay_alu instid0(VALU_DEP_4) | instskip(NEXT) | instid1(VALU_DEP_3)
	v_add_f32_e32 v24, v21, v31
	v_dual_add_f32 v31, v2, v43 :: v_dual_fmamk_f32 v2, v3, 0xbf737871, v20
	v_fmac_f32_e32 v6, 0xbf737871, v30
	v_fma_f32 v21, -0.5, v46, v25
	v_fmac_f32_e32 v20, 0x3f737871, v3
	v_fmac_f32_e32 v4, 0xbf167918, v3
	v_fmac_f32_e32 v2, 0xbf167918, v30
	v_fmac_f32_e32 v6, 0x3f167918, v3
	v_fmamk_f32 v3, v29, 0x3f737871, v21
	v_fmac_f32_e32 v20, 0x3f167918, v30
	v_sub_f32_e32 v30, v5, v7
	v_fmac_f32_e32 v2, 0x3e9e377a, v24
	v_fmac_f32_e32 v21, 0xbf737871, v29
	s_delay_alu instid0(VALU_DEP_4) | instskip(SKIP_1) | instid1(VALU_DEP_1)
	v_fmac_f32_e32 v20, 0x3e9e377a, v24
	v_add_f32_e32 v24, v26, v27
	v_fma_f32 v7, -0.5, v24, v25
	v_dual_sub_f32 v24, v26, v28 :: v_dual_sub_f32 v25, v27, v1
	s_delay_alu instid0(VALU_DEP_2) | instskip(NEXT) | instid1(VALU_DEP_2)
	v_dual_sub_f32 v26, v28, v26 :: v_dual_fmamk_f32 v5, v30, 0xbf737871, v7
	v_dual_fmac_f32 v7, 0x3f737871, v30 :: v_dual_add_f32 v24, v24, v25
	s_delay_alu instid0(VALU_DEP_2) | instskip(NEXT) | instid1(VALU_DEP_2)
	v_fmac_f32_e32 v5, 0x3f167918, v29
	v_dual_fmac_f32 v7, 0xbf167918, v29 :: v_dual_add_f32 v0, v0, v44
	v_fmac_f32_e32 v3, 0x3f167918, v30
	v_fmac_f32_e32 v21, 0xbf167918, v30
	;; [unrolled: 1-line block ×3, first 2 shown]
	v_dual_fmac_f32 v6, 0x3e9e377a, v31 :: v_dual_add_f32 v31, v45, v1
	v_sub_f32_e32 v1, v1, v27
	s_delay_alu instid0(VALU_DEP_4) | instskip(SKIP_1) | instid1(VALU_DEP_3)
	v_fmac_f32_e32 v21, 0x3e9e377a, v24
	v_fmac_f32_e32 v3, 0x3e9e377a, v24
	v_add_f32_e32 v25, v26, v1
	v_add_f32_e32 v1, v31, v27
	s_delay_alu instid0(VALU_DEP_2)
	v_fmac_f32_e32 v5, 0x3e9e377a, v25
	v_fmac_f32_e32 v7, 0x3e9e377a, v25
	ds_store_2addr_b64 v72, v[0:1], v[2:3] offset1:32
	ds_store_2addr_b64 v72, v[4:5], v[6:7] offset0:64 offset1:96
	ds_store_b64 v72, v[20:21] offset:1024
	global_wb scope:SCOPE_SE
	s_wait_dscnt 0x0
	s_barrier_signal -1
	s_barrier_wait -1
	global_inv scope:SCOPE_SE
	s_and_saveexec_b32 s1, s0
	s_cbranch_execz .LBB0_51
; %bb.50:
	v_add_nc_u32_e32 v4, 0x800, v55
	v_add_nc_u32_e32 v20, 0x1400, v55
	ds_load_2addr_b64 v[0:3], v55 offset1:160
	ds_load_2addr_b64 v[4:7], v4 offset0:64 offset1:224
	ds_load_2addr_b64 v[20:23], v20 offset1:160
	ds_load_b64 v[51:52], v55 offset:7680
.LBB0_51:
	s_wait_alu 0xfffe
	s_or_b32 exec_lo, exec_lo, s1
	s_and_saveexec_b32 s1, s0
	s_cbranch_execz .LBB0_53
; %bb.52:
	s_wait_dscnt 0x1
	v_dual_mul_f32 v24, v13, v3 :: v_dual_mul_f32 v25, v11, v21
	v_dual_mul_f32 v26, v9, v7 :: v_dual_mul_f32 v27, v15, v5
	s_wait_dscnt 0x0
	v_dual_mul_f32 v28, v17, v23 :: v_dual_mul_f32 v29, v19, v52
	s_delay_alu instid0(VALU_DEP_2) | instskip(NEXT) | instid1(VALU_DEP_2)
	v_dual_fmac_f32 v25, v10, v20 :: v_dual_fmac_f32 v26, v8, v6
	v_dual_fmac_f32 v27, v14, v4 :: v_dual_fmac_f32 v28, v16, v22
	s_delay_alu instid0(VALU_DEP_3) | instskip(SKIP_1) | instid1(VALU_DEP_3)
	v_dual_fmac_f32 v24, v12, v2 :: v_dual_fmac_f32 v29, v18, v51
	v_dual_mul_f32 v19, v19, v51 :: v_dual_mul_f32 v2, v13, v2
	v_dual_sub_f32 v30, v25, v26 :: v_dual_sub_f32 v31, v27, v28
	s_delay_alu instid0(VALU_DEP_3) | instskip(NEXT) | instid1(VALU_DEP_3)
	v_sub_f32_e32 v43, v24, v29
	v_fma_f32 v13, v18, v52, -v19
	s_delay_alu instid0(VALU_DEP_4) | instskip(SKIP_3) | instid1(VALU_DEP_3)
	v_fma_f32 v2, v12, v3, -v2
	v_dual_mul_f32 v3, v9, v6 :: v_dual_mul_f32 v6, v11, v20
	v_dual_sub_f32 v44, v30, v31 :: v_dual_mul_f32 v17, v17, v22
	v_mul_f32_e32 v4, v15, v4
	v_fma_f32 v3, v8, v7, -v3
	s_delay_alu instid0(VALU_DEP_4) | instskip(NEXT) | instid1(VALU_DEP_4)
	v_fma_f32 v6, v10, v21, -v6
	v_dual_sub_f32 v18, v43, v30 :: v_dual_mul_f32 v19, 0x3f08b237, v44
	v_fma_f32 v9, v16, v23, -v17
	v_fma_f32 v4, v14, v5, -v4
	s_delay_alu instid0(VALU_DEP_4) | instskip(NEXT) | instid1(VALU_DEP_4)
	v_dual_add_f32 v5, v30, v31 :: v_dual_add_f32 v8, v3, v6
	v_dual_add_f32 v11, v13, v2 :: v_dual_fmamk_f32 v12, v18, 0xbeae86e6, v19
	v_add_f32_e32 v15, v29, v24
	s_delay_alu instid0(VALU_DEP_3) | instskip(NEXT) | instid1(VALU_DEP_3)
	v_add_f32_e32 v5, v5, v43
	v_dual_add_f32 v17, v26, v25 :: v_dual_sub_f32 v14, v11, v8
	v_dual_add_f32 v7, v9, v4 :: v_dual_sub_f32 v2, v2, v13
	s_delay_alu instid0(VALU_DEP_3) | instskip(SKIP_1) | instid1(VALU_DEP_3)
	v_fmac_f32_e32 v12, 0xbee1c552, v5
	v_sub_f32_e32 v4, v4, v9
	v_add_f32_e32 v10, v7, v11
	s_delay_alu instid0(VALU_DEP_1) | instskip(NEXT) | instid1(VALU_DEP_1)
	v_add_f32_e32 v10, v8, v10
	v_dual_add_f32 v16, v28, v27 :: v_dual_add_f32 v1, v1, v10
	v_mul_f32_e32 v14, 0x3f4a47b2, v14
	s_delay_alu instid0(VALU_DEP_2)
	v_fmamk_f32 v10, v10, 0xbf955555, v1
	v_sub_f32_e32 v22, v15, v17
	v_sub_f32_e32 v8, v8, v7
	;; [unrolled: 1-line block ×5, first 2 shown]
	v_dual_mul_f32 v9, 0x3f4a47b2, v22 :: v_dual_add_f32 v20, v16, v15
	v_mul_f32_e32 v21, 0x3d64c772, v8
	s_delay_alu instid0(VALU_DEP_2) | instskip(SKIP_1) | instid1(VALU_DEP_1)
	v_dual_sub_f32 v15, v4, v2 :: v_dual_add_f32 v20, v17, v20
	v_dual_sub_f32 v17, v17, v16 :: v_dual_sub_f32 v6, v6, v3
	v_dual_fmamk_f32 v8, v8, 0x3d64c772, v14 :: v_dual_sub_f32 v3, v6, v4
	s_delay_alu instid0(VALU_DEP_1) | instskip(SKIP_1) | instid1(VALU_DEP_3)
	v_dual_add_f32 v13, v8, v10 :: v_dual_fmamk_f32 v8, v17, 0x3d64c772, v9
	v_mul_f32_e32 v17, 0x3d64c772, v17
	v_dual_mul_f32 v23, 0x3f08b237, v3 :: v_dual_add_f32 v0, v0, v20
	s_delay_alu instid0(VALU_DEP_3) | instskip(NEXT) | instid1(VALU_DEP_2)
	v_add_f32_e32 v3, v12, v13
	v_dual_sub_f32 v13, v13, v12 :: v_dual_fmamk_f32 v20, v20, 0xbf955555, v0
	s_delay_alu instid0(VALU_DEP_1) | instskip(SKIP_1) | instid1(VALU_DEP_1)
	v_add_f32_e32 v25, v8, v20
	v_mul_f32_e32 v8, 0xbf5ff5aa, v24
	v_fma_f32 v16, 0x3eae86e6, v18, -v8
	v_fma_f32 v8, 0xbf3bfb3b, v11, -v9
	v_mul_f32_e32 v9, 0xbf5ff5aa, v15
	v_fma_f32 v15, 0xbf5ff5aa, v15, -v23
	v_add_f32_e32 v4, v6, v4
	v_fmac_f32_e32 v16, 0xbee1c552, v5
	v_add_f32_e32 v18, v8, v20
	v_fma_f32 v8, 0xbf5ff5aa, v24, -v19
	s_delay_alu instid0(VALU_DEP_1) | instskip(SKIP_2) | instid1(VALU_DEP_1)
	v_fmac_f32_e32 v8, 0xbee1c552, v5
	v_sub_f32_e32 v22, v2, v6
	v_fma_f32 v6, 0xbf3bfb3b, v7, -v14
	v_add_f32_e32 v14, v6, v10
	v_add_f32_e32 v2, v4, v2
	v_fma_f32 v4, 0x3f3bfb3b, v7, -v21
	v_fmamk_f32 v26, v22, 0xbeae86e6, v23
	v_fma_f32 v22, 0x3eae86e6, v22, -v9
	v_fma_f32 v6, 0x3f3bfb3b, v11, -v17
	v_sub_f32_e32 v11, v14, v16
	v_add_f32_e32 v9, v4, v10
	v_fmac_f32_e32 v26, 0xbee1c552, v2
	v_fmac_f32_e32 v22, 0xbee1c552, v2
	;; [unrolled: 1-line block ×3, first 2 shown]
	s_delay_alu instid0(VALU_DEP_4) | instskip(SKIP_4) | instid1(VALU_DEP_4)
	v_sub_f32_e32 v7, v9, v8
	v_add_f32_e32 v10, v6, v20
	v_add_f32_e32 v12, v26, v25
	v_dual_add_f32 v9, v8, v9 :: v_dual_sub_f32 v4, v18, v22
	v_sub_f32_e32 v2, v25, v26
	v_add_f32_e32 v6, v15, v10
	v_sub_f32_e32 v8, v10, v15
	v_dual_add_f32 v10, v22, v18 :: v_dual_add_nc_u32 v15, 0x1400, v55
	v_dual_add_f32 v5, v16, v14 :: v_dual_add_nc_u32 v14, 0x800, v55
	ds_store_2addr_b64 v55, v[0:1], v[12:13] offset1:160
	ds_store_2addr_b64 v14, v[10:11], v[8:9] offset0:64 offset1:224
	ds_store_2addr_b64 v15, v[6:7], v[4:5] offset1:160
	ds_store_b64 v55, v[2:3] offset:7680
.LBB0_53:
	s_wait_alu 0xfffe
	s_or_b32 exec_lo, exec_lo, s1
	global_wb scope:SCOPE_SE
	s_wait_dscnt 0x0
	s_barrier_signal -1
	s_barrier_wait -1
	global_inv scope:SCOPE_SE
	ds_load_2addr_b64 v[0:3], v55 offset1:224
	v_add_nc_u32_e32 v4, 0x1100, v55
	v_mad_co_u64_u32 v[16:17], null, s6, v32, 0
	v_mad_co_u64_u32 v[18:19], null, s4, v56, 0
	s_mov_b32 s2, 0x1d41d41d
	s_mov_b32 s3, 0x3f4d41d4
	s_movk_i32 s10, 0xfeb0
	s_mov_b32 s11, -1
	s_delay_alu instid0(VALU_DEP_1)
	v_mad_co_u64_u32 v[20:21], null, s7, v32, v[17:18]
	s_mul_u64 s[6:7], s[4:5], 0x230
	s_wait_alu 0xfffe
	s_lshl_b64 s[6:7], s[6:7], 3
	s_wait_dscnt 0x0
	v_mul_f32_e32 v9, v38, v0
	ds_load_2addr_b64 v[4:7], v4 offset0:16 offset1:240
	v_mad_co_u64_u32 v[21:22], null, s5, v56, v[19:20]
	v_mul_f32_e32 v8, v38, v1
	v_mul_f32_e32 v10, v42, v3
	v_fma_f32 v9, v37, v1, -v9
	s_mul_u64 s[4:5], s[4:5], s[10:11]
	v_mov_b32_e32 v17, v20
	s_wait_alu 0xfffe
	s_lshl_b64 s[4:5], s[4:5], 3
	v_mov_b32_e32 v19, v21
	s_wait_dscnt 0x0
	v_mul_f32_e32 v15, v40, v6
	v_mul_f32_e32 v12, v36, v5
	v_mul_f32_e32 v13, v36, v4
	v_dual_mul_f32 v11, v42, v2 :: v_dual_fmac_f32 v8, v37, v0
	v_mul_f32_e32 v14, v40, v7
	v_fmac_f32_e32 v10, v41, v2
	v_fmac_f32_e32 v12, v35, v4
	s_delay_alu instid0(VALU_DEP_4)
	v_fma_f32 v11, v41, v3, -v11
	v_fma_f32 v13, v35, v5, -v13
	v_fmac_f32_e32 v14, v39, v6
	v_fma_f32 v15, v39, v7, -v15
	v_cvt_f64_f32_e32 v[0:1], v8
	v_cvt_f64_f32_e32 v[2:3], v9
	;; [unrolled: 1-line block ×8, first 2 shown]
	v_mul_f64_e32 v[0:1], s[2:3], v[0:1]
	v_mul_f64_e32 v[2:3], s[2:3], v[2:3]
	;; [unrolled: 1-line block ×8, first 2 shown]
	v_cvt_f32_f64_e32 v22, v[0:1]
	v_cvt_f32_f64_e32 v23, v[2:3]
	;; [unrolled: 1-line block ×8, first 2 shown]
	v_lshlrev_b64_e32 v[0:1], 3, v[16:17]
	v_lshlrev_b64_e32 v[8:9], 3, v[18:19]
	s_delay_alu instid0(VALU_DEP_2) | instskip(SKIP_1) | instid1(VALU_DEP_3)
	v_add_co_u32 v0, s0, s8, v0
	s_wait_alu 0xf1ff
	v_add_co_ci_u32_e64 v1, s0, s9, v1, s0
	s_delay_alu instid0(VALU_DEP_2) | instskip(SKIP_1) | instid1(VALU_DEP_2)
	v_add_co_u32 v8, s0, v0, v8
	s_wait_alu 0xf1ff
	v_add_co_ci_u32_e64 v9, s0, v1, v9, s0
	s_delay_alu instid0(VALU_DEP_2) | instskip(SKIP_1) | instid1(VALU_DEP_2)
	v_add_co_u32 v10, s0, v8, s6
	s_wait_alu 0xf1ff
	v_add_co_ci_u32_e64 v11, s0, s7, v9, s0
	s_wait_alu 0xfffe
	s_delay_alu instid0(VALU_DEP_2) | instskip(SKIP_1) | instid1(VALU_DEP_2)
	v_add_co_u32 v12, s0, v10, s4
	s_wait_alu 0xf1ff
	v_add_co_ci_u32_e64 v13, s0, s5, v11, s0
	s_delay_alu instid0(VALU_DEP_2) | instskip(SKIP_1) | instid1(VALU_DEP_2)
	v_add_co_u32 v0, s0, v12, s6
	s_wait_alu 0xf1ff
	v_add_co_ci_u32_e64 v1, s0, s7, v13, s0
	s_clause 0x3
	global_store_b64 v[8:9], v[22:23], off
	global_store_b64 v[10:11], v[4:5], off
	;; [unrolled: 1-line block ×4, first 2 shown]
	s_and_b32 exec_lo, exec_lo, vcc_lo
	s_cbranch_execz .LBB0_55
; %bb.54:
	s_clause 0x1
	global_load_b64 v[2:3], v[33:34], off offset:3584
	global_load_b64 v[4:5], v[33:34], off offset:8064
	ds_load_b64 v[6:7], v55 offset:3584
	ds_load_b64 v[8:9], v55 offset:8064
	v_add_co_u32 v0, vcc_lo, v0, s4
	s_wait_alu 0xfffd
	v_add_co_ci_u32_e32 v1, vcc_lo, s5, v1, vcc_lo
	s_wait_loadcnt_dscnt 0x0
	v_dual_mul_f32 v10, v7, v3 :: v_dual_mul_f32 v11, v9, v5
	v_mul_f32_e32 v3, v6, v3
	s_delay_alu instid0(VALU_DEP_2) | instskip(NEXT) | instid1(VALU_DEP_3)
	v_dual_mul_f32 v5, v8, v5 :: v_dual_fmac_f32 v10, v6, v2
	v_fmac_f32_e32 v11, v8, v4
	s_delay_alu instid0(VALU_DEP_3) | instskip(NEXT) | instid1(VALU_DEP_3)
	v_fma_f32 v6, v2, v7, -v3
	v_fma_f32 v8, v4, v9, -v5
	s_delay_alu instid0(VALU_DEP_4) | instskip(NEXT) | instid1(VALU_DEP_3)
	v_cvt_f64_f32_e32 v[2:3], v10
	v_cvt_f64_f32_e32 v[4:5], v6
	;; [unrolled: 1-line block ×3, first 2 shown]
	s_delay_alu instid0(VALU_DEP_4) | instskip(NEXT) | instid1(VALU_DEP_4)
	v_cvt_f64_f32_e32 v[8:9], v8
	v_mul_f64_e32 v[2:3], s[2:3], v[2:3]
	s_delay_alu instid0(VALU_DEP_4) | instskip(NEXT) | instid1(VALU_DEP_4)
	v_mul_f64_e32 v[4:5], s[2:3], v[4:5]
	v_mul_f64_e32 v[6:7], s[2:3], v[6:7]
	s_delay_alu instid0(VALU_DEP_4) | instskip(NEXT) | instid1(VALU_DEP_4)
	v_mul_f64_e32 v[8:9], s[2:3], v[8:9]
	v_cvt_f32_f64_e32 v2, v[2:3]
	s_delay_alu instid0(VALU_DEP_4) | instskip(NEXT) | instid1(VALU_DEP_4)
	v_cvt_f32_f64_e32 v3, v[4:5]
	v_cvt_f32_f64_e32 v4, v[6:7]
	s_delay_alu instid0(VALU_DEP_4)
	v_cvt_f32_f64_e32 v5, v[8:9]
	v_add_co_u32 v6, vcc_lo, v0, s6
	s_wait_alu 0xfffd
	v_add_co_ci_u32_e32 v7, vcc_lo, s7, v1, vcc_lo
	global_store_b64 v[0:1], v[2:3], off
	global_store_b64 v[6:7], v[4:5], off
.LBB0_55:
	s_nop 0
	s_sendmsg sendmsg(MSG_DEALLOC_VGPRS)
	s_endpgm
	.section	.rodata,"a",@progbits
	.p2align	6, 0x0
	.amdhsa_kernel bluestein_single_fwd_len1120_dim1_sp_op_CI_CI
		.amdhsa_group_segment_fixed_size 8960
		.amdhsa_private_segment_fixed_size 0
		.amdhsa_kernarg_size 104
		.amdhsa_user_sgpr_count 2
		.amdhsa_user_sgpr_dispatch_ptr 0
		.amdhsa_user_sgpr_queue_ptr 0
		.amdhsa_user_sgpr_kernarg_segment_ptr 1
		.amdhsa_user_sgpr_dispatch_id 0
		.amdhsa_user_sgpr_private_segment_size 0
		.amdhsa_wavefront_size32 1
		.amdhsa_uses_dynamic_stack 0
		.amdhsa_enable_private_segment 0
		.amdhsa_system_sgpr_workgroup_id_x 1
		.amdhsa_system_sgpr_workgroup_id_y 0
		.amdhsa_system_sgpr_workgroup_id_z 0
		.amdhsa_system_sgpr_workgroup_info 0
		.amdhsa_system_vgpr_workitem_id 0
		.amdhsa_next_free_vgpr 84
		.amdhsa_next_free_sgpr 18
		.amdhsa_reserve_vcc 1
		.amdhsa_float_round_mode_32 0
		.amdhsa_float_round_mode_16_64 0
		.amdhsa_float_denorm_mode_32 3
		.amdhsa_float_denorm_mode_16_64 3
		.amdhsa_fp16_overflow 0
		.amdhsa_workgroup_processor_mode 1
		.amdhsa_memory_ordered 1
		.amdhsa_forward_progress 0
		.amdhsa_round_robin_scheduling 0
		.amdhsa_exception_fp_ieee_invalid_op 0
		.amdhsa_exception_fp_denorm_src 0
		.amdhsa_exception_fp_ieee_div_zero 0
		.amdhsa_exception_fp_ieee_overflow 0
		.amdhsa_exception_fp_ieee_underflow 0
		.amdhsa_exception_fp_ieee_inexact 0
		.amdhsa_exception_int_div_zero 0
	.end_amdhsa_kernel
	.text
.Lfunc_end0:
	.size	bluestein_single_fwd_len1120_dim1_sp_op_CI_CI, .Lfunc_end0-bluestein_single_fwd_len1120_dim1_sp_op_CI_CI
                                        ; -- End function
	.section	.AMDGPU.csdata,"",@progbits
; Kernel info:
; codeLenInByte = 8244
; NumSgprs: 20
; NumVgprs: 84
; ScratchSize: 0
; MemoryBound: 0
; FloatMode: 240
; IeeeMode: 1
; LDSByteSize: 8960 bytes/workgroup (compile time only)
; SGPRBlocks: 2
; VGPRBlocks: 10
; NumSGPRsForWavesPerEU: 20
; NumVGPRsForWavesPerEU: 84
; Occupancy: 16
; WaveLimiterHint : 1
; COMPUTE_PGM_RSRC2:SCRATCH_EN: 0
; COMPUTE_PGM_RSRC2:USER_SGPR: 2
; COMPUTE_PGM_RSRC2:TRAP_HANDLER: 0
; COMPUTE_PGM_RSRC2:TGID_X_EN: 1
; COMPUTE_PGM_RSRC2:TGID_Y_EN: 0
; COMPUTE_PGM_RSRC2:TGID_Z_EN: 0
; COMPUTE_PGM_RSRC2:TIDIG_COMP_CNT: 0
	.text
	.p2alignl 7, 3214868480
	.fill 96, 4, 3214868480
	.type	__hip_cuid_7819a19d9b8ac559,@object ; @__hip_cuid_7819a19d9b8ac559
	.section	.bss,"aw",@nobits
	.globl	__hip_cuid_7819a19d9b8ac559
__hip_cuid_7819a19d9b8ac559:
	.byte	0                               ; 0x0
	.size	__hip_cuid_7819a19d9b8ac559, 1

	.ident	"AMD clang version 19.0.0git (https://github.com/RadeonOpenCompute/llvm-project roc-6.4.0 25133 c7fe45cf4b819c5991fe208aaa96edf142730f1d)"
	.section	".note.GNU-stack","",@progbits
	.addrsig
	.addrsig_sym __hip_cuid_7819a19d9b8ac559
	.amdgpu_metadata
---
amdhsa.kernels:
  - .args:
      - .actual_access:  read_only
        .address_space:  global
        .offset:         0
        .size:           8
        .value_kind:     global_buffer
      - .actual_access:  read_only
        .address_space:  global
        .offset:         8
        .size:           8
        .value_kind:     global_buffer
      - .actual_access:  read_only
        .address_space:  global
        .offset:         16
        .size:           8
        .value_kind:     global_buffer
      - .actual_access:  read_only
        .address_space:  global
        .offset:         24
        .size:           8
        .value_kind:     global_buffer
      - .actual_access:  read_only
        .address_space:  global
        .offset:         32
        .size:           8
        .value_kind:     global_buffer
      - .offset:         40
        .size:           8
        .value_kind:     by_value
      - .address_space:  global
        .offset:         48
        .size:           8
        .value_kind:     global_buffer
      - .address_space:  global
        .offset:         56
        .size:           8
        .value_kind:     global_buffer
      - .address_space:  global
        .offset:         64
        .size:           8
        .value_kind:     global_buffer
      - .address_space:  global
        .offset:         72
        .size:           8
        .value_kind:     global_buffer
      - .offset:         80
        .size:           4
        .value_kind:     by_value
      - .address_space:  global
        .offset:         88
        .size:           8
        .value_kind:     global_buffer
      - .address_space:  global
        .offset:         96
        .size:           8
        .value_kind:     global_buffer
    .group_segment_fixed_size: 8960
    .kernarg_segment_align: 8
    .kernarg_segment_size: 104
    .language:       OpenCL C
    .language_version:
      - 2
      - 0
    .max_flat_workgroup_size: 224
    .name:           bluestein_single_fwd_len1120_dim1_sp_op_CI_CI
    .private_segment_fixed_size: 0
    .sgpr_count:     20
    .sgpr_spill_count: 0
    .symbol:         bluestein_single_fwd_len1120_dim1_sp_op_CI_CI.kd
    .uniform_work_group_size: 1
    .uses_dynamic_stack: false
    .vgpr_count:     84
    .vgpr_spill_count: 0
    .wavefront_size: 32
    .workgroup_processor_mode: 1
amdhsa.target:   amdgcn-amd-amdhsa--gfx1201
amdhsa.version:
  - 1
  - 2
...

	.end_amdgpu_metadata
